;; amdgpu-corpus repo=ggml-org/llama.cpp kind=compiled arch=gfx1100 opt=O3
	.text
	.amdgcn_target "amdgcn-amd-amdhsa--gfx1100"
	.amdhsa_code_object_version 6
	.section	.text._Z9fwht_cudaILi64EEvPKfPflf,"axG",@progbits,_Z9fwht_cudaILi64EEvPKfPflf,comdat
	.protected	_Z9fwht_cudaILi64EEvPKfPflf ; -- Begin function _Z9fwht_cudaILi64EEvPKfPflf
	.globl	_Z9fwht_cudaILi64EEvPKfPflf
	.p2align	8
	.type	_Z9fwht_cudaILi64EEvPKfPflf,@function
_Z9fwht_cudaILi64EEvPKfPflf:            ; @_Z9fwht_cudaILi64EEvPKfPflf
; %bb.0:
	s_clause 0x1
	s_load_b32 s4, s[0:1], 0x2c
	s_load_b64 s[2:3], s[0:1], 0x10
	v_bfe_u32 v3, v0, 10, 10
	v_mov_b32_e32 v4, 0
	s_waitcnt lgkmcnt(0)
	s_lshr_b32 s4, s4, 16
	s_delay_alu instid0(VALU_DEP_1) | instid1(SALU_CYCLE_1)
	v_mad_u64_u32 v[1:2], null, s4, s15, v[3:4]
	s_delay_alu instid0(VALU_DEP_1)
	v_cmp_gt_i64_e32 vcc_lo, s[2:3], v[1:2]
	s_and_saveexec_b32 s2, vcc_lo
	s_cbranch_execz .LBB0_2
; %bb.1:
	s_load_b128 s[4:7], s[0:1], 0x0
	v_and_b32_e32 v4, 0x3ff, v0
	v_lshlrev_b64 v[0:1], 8, v[1:2]
	s_load_b32 s0, s[0:1], 0x18
	s_delay_alu instid0(VALU_DEP_2) | instskip(SKIP_1) | instid1(VALU_DEP_2)
	v_lshlrev_b32_e32 v5, 2, v4
	s_waitcnt lgkmcnt(0)
	v_add_co_u32 v2, vcc_lo, s4, v0
	s_delay_alu instid0(VALU_DEP_3) | instskip(NEXT) | instid1(VALU_DEP_2)
	v_add_co_ci_u32_e32 v3, vcc_lo, s5, v1, vcc_lo
	v_add_co_u32 v2, vcc_lo, v2, v5
	s_delay_alu instid0(VALU_DEP_2) | instskip(SKIP_4) | instid1(VALU_DEP_1)
	v_add_co_ci_u32_e32 v3, vcc_lo, 0, v3, vcc_lo
	s_clause 0x1
	global_load_b32 v6, v[2:3], off
	global_load_b32 v2, v[2:3], off offset:128
	v_mbcnt_lo_u32_b32 v3, -1, 0
	v_xor_b32_e32 v7, 1, v3
	v_xor_b32_e32 v10, 2, v3
	s_delay_alu instid0(VALU_DEP_2) | instskip(SKIP_2) | instid1(VALU_DEP_1)
	v_cmp_gt_i32_e32 vcc_lo, 32, v7
	v_cndmask_b32_e32 v7, v3, v7, vcc_lo
	s_waitcnt vmcnt(1)
	v_dual_mul_f32 v6, s0, v6 :: v_dual_lshlrev_b32 v7, 2, v7
	s_waitcnt vmcnt(0)
	v_mul_f32_e32 v2, s0, v2
	v_cmp_gt_i32_e64 s0, 32, v10
	ds_bpermute_b32 v8, v7, v6
	ds_bpermute_b32 v7, v7, v2
	v_and_b32_e32 v9, 1, v4
	s_delay_alu instid0(VALU_DEP_1) | instskip(SKIP_4) | instid1(VALU_DEP_4)
	v_cmp_eq_u32_e32 vcc_lo, 0, v9
	v_cndmask_b32_e64 v9, v3, v10, s0
	v_xor_b32_e32 v10, 4, v3
	v_cndmask_b32_e64 v6, -v6, v6, vcc_lo
	v_cndmask_b32_e64 v2, -v2, v2, vcc_lo
	v_lshlrev_b32_e32 v9, 2, v9
	s_delay_alu instid0(VALU_DEP_4)
	v_cmp_gt_i32_e64 s0, 32, v10
	s_waitcnt lgkmcnt(1)
	v_add_f32_e32 v6, v6, v8
	s_waitcnt lgkmcnt(0)
	v_add_f32_e32 v2, v2, v7
	ds_bpermute_b32 v7, v9, v6
	ds_bpermute_b32 v8, v9, v2
	v_and_b32_e32 v9, 2, v4
	s_delay_alu instid0(VALU_DEP_1) | instskip(SKIP_4) | instid1(VALU_DEP_4)
	v_cmp_eq_u32_e32 vcc_lo, 0, v9
	v_cndmask_b32_e64 v9, v3, v10, s0
	v_xor_b32_e32 v10, 8, v3
	v_cndmask_b32_e64 v6, -v6, v6, vcc_lo
	v_cndmask_b32_e64 v2, -v2, v2, vcc_lo
	v_lshlrev_b32_e32 v9, 2, v9
	s_delay_alu instid0(VALU_DEP_4)
	v_cmp_gt_i32_e64 s0, 32, v10
	s_waitcnt lgkmcnt(1)
	v_add_f32_e32 v6, v6, v7
	s_waitcnt lgkmcnt(0)
	v_add_f32_e32 v2, v2, v8
	ds_bpermute_b32 v7, v9, v6
	ds_bpermute_b32 v8, v9, v2
	v_and_b32_e32 v9, 4, v4
	s_delay_alu instid0(VALU_DEP_1) | instskip(SKIP_4) | instid1(VALU_DEP_4)
	v_cmp_eq_u32_e32 vcc_lo, 0, v9
	v_cndmask_b32_e64 v9, v3, v10, s0
	v_xor_b32_e32 v10, 16, v3
	v_cndmask_b32_e64 v6, -v6, v6, vcc_lo
	v_cndmask_b32_e64 v2, -v2, v2, vcc_lo
	v_lshlrev_b32_e32 v9, 2, v9
	s_delay_alu instid0(VALU_DEP_4) | instskip(NEXT) | instid1(VALU_DEP_1)
	v_cmp_gt_i32_e64 s0, 32, v10
	v_cndmask_b32_e64 v3, v3, v10, s0
	s_waitcnt lgkmcnt(0)
	v_add_f32_e32 v2, v2, v8
	v_add_f32_e32 v6, v6, v7
	ds_bpermute_b32 v8, v9, v2
	ds_bpermute_b32 v7, v9, v6
	v_and_b32_e32 v9, 8, v4
	v_and_b32_e32 v4, 16, v4
	s_delay_alu instid0(VALU_DEP_2)
	v_cmp_eq_u32_e32 vcc_lo, 0, v9
	v_cndmask_b32_e64 v6, -v6, v6, vcc_lo
	v_cndmask_b32_e64 v2, -v2, v2, vcc_lo
	v_lshlrev_b32_e32 v3, 2, v3
	v_cmp_eq_u32_e32 vcc_lo, 0, v4
	s_waitcnt lgkmcnt(1)
	s_delay_alu instid0(VALU_DEP_3)
	v_add_f32_e32 v2, v2, v8
	s_waitcnt lgkmcnt(0)
	v_add_f32_e32 v6, v6, v7
	ds_bpermute_b32 v7, v3, v6
	ds_bpermute_b32 v3, v3, v2
	v_cndmask_b32_e64 v4, -v6, v6, vcc_lo
	v_cndmask_b32_e64 v2, -v2, v2, vcc_lo
	v_add_co_u32 v0, vcc_lo, s6, v0
	v_add_co_ci_u32_e32 v1, vcc_lo, s7, v1, vcc_lo
	s_delay_alu instid0(VALU_DEP_2) | instskip(NEXT) | instid1(VALU_DEP_2)
	v_add_co_u32 v0, vcc_lo, v0, v5
	v_add_co_ci_u32_e32 v1, vcc_lo, 0, v1, vcc_lo
	s_waitcnt lgkmcnt(1)
	v_add_f32_e32 v4, v4, v7
	s_waitcnt lgkmcnt(0)
	v_add_f32_e32 v2, v2, v3
	s_delay_alu instid0(VALU_DEP_1)
	v_dual_add_f32 v3, v2, v4 :: v_dual_sub_f32 v2, v4, v2
	s_clause 0x1
	global_store_b32 v[0:1], v3, off
	global_store_b32 v[0:1], v2, off offset:128
.LBB0_2:
	s_nop 0
	s_sendmsg sendmsg(MSG_DEALLOC_VGPRS)
	s_endpgm
	.section	.rodata,"a",@progbits
	.p2align	6, 0x0
	.amdhsa_kernel _Z9fwht_cudaILi64EEvPKfPflf
		.amdhsa_group_segment_fixed_size 0
		.amdhsa_private_segment_fixed_size 0
		.amdhsa_kernarg_size 288
		.amdhsa_user_sgpr_count 15
		.amdhsa_user_sgpr_dispatch_ptr 0
		.amdhsa_user_sgpr_queue_ptr 0
		.amdhsa_user_sgpr_kernarg_segment_ptr 1
		.amdhsa_user_sgpr_dispatch_id 0
		.amdhsa_user_sgpr_private_segment_size 0
		.amdhsa_wavefront_size32 1
		.amdhsa_uses_dynamic_stack 0
		.amdhsa_enable_private_segment 0
		.amdhsa_system_sgpr_workgroup_id_x 1
		.amdhsa_system_sgpr_workgroup_id_y 0
		.amdhsa_system_sgpr_workgroup_id_z 0
		.amdhsa_system_sgpr_workgroup_info 0
		.amdhsa_system_vgpr_workitem_id 1
		.amdhsa_next_free_vgpr 11
		.amdhsa_next_free_sgpr 16
		.amdhsa_reserve_vcc 1
		.amdhsa_float_round_mode_32 0
		.amdhsa_float_round_mode_16_64 0
		.amdhsa_float_denorm_mode_32 3
		.amdhsa_float_denorm_mode_16_64 3
		.amdhsa_dx10_clamp 1
		.amdhsa_ieee_mode 1
		.amdhsa_fp16_overflow 0
		.amdhsa_workgroup_processor_mode 1
		.amdhsa_memory_ordered 1
		.amdhsa_forward_progress 0
		.amdhsa_shared_vgpr_count 0
		.amdhsa_exception_fp_ieee_invalid_op 0
		.amdhsa_exception_fp_denorm_src 0
		.amdhsa_exception_fp_ieee_div_zero 0
		.amdhsa_exception_fp_ieee_overflow 0
		.amdhsa_exception_fp_ieee_underflow 0
		.amdhsa_exception_fp_ieee_inexact 0
		.amdhsa_exception_int_div_zero 0
	.end_amdhsa_kernel
	.section	.text._Z9fwht_cudaILi64EEvPKfPflf,"axG",@progbits,_Z9fwht_cudaILi64EEvPKfPflf,comdat
.Lfunc_end0:
	.size	_Z9fwht_cudaILi64EEvPKfPflf, .Lfunc_end0-_Z9fwht_cudaILi64EEvPKfPflf
                                        ; -- End function
	.section	.AMDGPU.csdata,"",@progbits
; Kernel info:
; codeLenInByte = 684
; NumSgprs: 18
; NumVgprs: 11
; ScratchSize: 0
; MemoryBound: 0
; FloatMode: 240
; IeeeMode: 1
; LDSByteSize: 0 bytes/workgroup (compile time only)
; SGPRBlocks: 2
; VGPRBlocks: 1
; NumSGPRsForWavesPerEU: 18
; NumVGPRsForWavesPerEU: 11
; Occupancy: 16
; WaveLimiterHint : 1
; COMPUTE_PGM_RSRC2:SCRATCH_EN: 0
; COMPUTE_PGM_RSRC2:USER_SGPR: 15
; COMPUTE_PGM_RSRC2:TRAP_HANDLER: 0
; COMPUTE_PGM_RSRC2:TGID_X_EN: 1
; COMPUTE_PGM_RSRC2:TGID_Y_EN: 0
; COMPUTE_PGM_RSRC2:TGID_Z_EN: 0
; COMPUTE_PGM_RSRC2:TIDIG_COMP_CNT: 1
	.section	.text._Z9fwht_cudaILi128EEvPKfPflf,"axG",@progbits,_Z9fwht_cudaILi128EEvPKfPflf,comdat
	.protected	_Z9fwht_cudaILi128EEvPKfPflf ; -- Begin function _Z9fwht_cudaILi128EEvPKfPflf
	.globl	_Z9fwht_cudaILi128EEvPKfPflf
	.p2align	8
	.type	_Z9fwht_cudaILi128EEvPKfPflf,@function
_Z9fwht_cudaILi128EEvPKfPflf:           ; @_Z9fwht_cudaILi128EEvPKfPflf
; %bb.0:
	s_clause 0x1
	s_load_b32 s4, s[0:1], 0x2c
	s_load_b64 s[2:3], s[0:1], 0x10
	v_bfe_u32 v3, v0, 10, 10
	v_mov_b32_e32 v4, 0
	s_waitcnt lgkmcnt(0)
	s_lshr_b32 s4, s4, 16
	s_delay_alu instid0(VALU_DEP_1) | instid1(SALU_CYCLE_1)
	v_mad_u64_u32 v[1:2], null, s4, s15, v[3:4]
	s_delay_alu instid0(VALU_DEP_1)
	v_cmp_gt_i64_e32 vcc_lo, s[2:3], v[1:2]
	s_and_saveexec_b32 s2, vcc_lo
	s_cbranch_execz .LBB1_2
; %bb.1:
	s_load_b128 s[4:7], s[0:1], 0x0
	v_and_b32_e32 v4, 0x3ff, v0
	v_lshlrev_b64 v[0:1], 9, v[1:2]
	s_load_b32 s0, s[0:1], 0x18
	s_delay_alu instid0(VALU_DEP_2) | instskip(SKIP_1) | instid1(VALU_DEP_2)
	v_lshlrev_b32_e32 v5, 2, v4
	s_waitcnt lgkmcnt(0)
	v_add_co_u32 v2, vcc_lo, s4, v0
	s_delay_alu instid0(VALU_DEP_3) | instskip(NEXT) | instid1(VALU_DEP_2)
	v_add_co_ci_u32_e32 v3, vcc_lo, s5, v1, vcc_lo
	v_add_co_u32 v2, vcc_lo, v2, v5
	s_delay_alu instid0(VALU_DEP_2)
	v_add_co_ci_u32_e32 v3, vcc_lo, 0, v3, vcc_lo
	s_clause 0x3
	global_load_b32 v6, v[2:3], off
	global_load_b32 v7, v[2:3], off offset:128
	global_load_b32 v8, v[2:3], off offset:256
	;; [unrolled: 1-line block ×3, first 2 shown]
	v_mbcnt_lo_u32_b32 v3, -1, 0
	s_delay_alu instid0(VALU_DEP_1) | instskip(SKIP_1) | instid1(VALU_DEP_2)
	v_xor_b32_e32 v9, 1, v3
	v_xor_b32_e32 v14, 2, v3
	v_cmp_gt_i32_e32 vcc_lo, 32, v9
	v_cndmask_b32_e32 v9, v3, v9, vcc_lo
	s_waitcnt vmcnt(3)
	s_delay_alu instid0(VALU_DEP_1)
	v_dual_mul_f32 v6, s0, v6 :: v_dual_lshlrev_b32 v9, 2, v9
	s_waitcnt vmcnt(1)
	v_dual_mul_f32 v7, s0, v7 :: v_dual_mul_f32 v8, s0, v8
	s_waitcnt vmcnt(0)
	v_mul_f32_e32 v2, s0, v2
	v_cmp_gt_i32_e64 s0, 32, v14
	ds_bpermute_b32 v10, v9, v6
	ds_bpermute_b32 v11, v9, v7
	ds_bpermute_b32 v12, v9, v8
	ds_bpermute_b32 v9, v9, v2
	v_and_b32_e32 v13, 1, v4
	s_delay_alu instid0(VALU_DEP_1)
	v_cmp_eq_u32_e32 vcc_lo, 0, v13
	v_cndmask_b32_e64 v13, v3, v14, s0
	v_xor_b32_e32 v14, 4, v3
	v_cndmask_b32_e64 v6, -v6, v6, vcc_lo
	v_cndmask_b32_e64 v7, -v7, v7, vcc_lo
	v_cndmask_b32_e64 v8, -v8, v8, vcc_lo
	v_cndmask_b32_e64 v2, -v2, v2, vcc_lo
	v_lshlrev_b32_e32 v13, 2, v13
	v_cmp_gt_i32_e64 s0, 32, v14
	s_waitcnt lgkmcnt(2)
	v_dual_add_f32 v6, v6, v10 :: v_dual_add_f32 v7, v7, v11
	s_waitcnt lgkmcnt(1)
	v_add_f32_e32 v8, v8, v12
	s_waitcnt lgkmcnt(0)
	v_add_f32_e32 v2, v2, v9
	ds_bpermute_b32 v9, v13, v6
	ds_bpermute_b32 v10, v13, v7
	ds_bpermute_b32 v11, v13, v8
	ds_bpermute_b32 v12, v13, v2
	v_and_b32_e32 v13, 2, v4
	s_delay_alu instid0(VALU_DEP_1)
	v_cmp_eq_u32_e32 vcc_lo, 0, v13
	v_cndmask_b32_e64 v13, v3, v14, s0
	v_xor_b32_e32 v14, 8, v3
	v_cndmask_b32_e64 v6, -v6, v6, vcc_lo
	v_cndmask_b32_e64 v7, -v7, v7, vcc_lo
	v_cndmask_b32_e64 v8, -v8, v8, vcc_lo
	v_cndmask_b32_e64 v2, -v2, v2, vcc_lo
	v_lshlrev_b32_e32 v13, 2, v13
	v_cmp_gt_i32_e64 s0, 32, v14
	s_waitcnt lgkmcnt(2)
	v_dual_add_f32 v6, v6, v9 :: v_dual_add_f32 v7, v7, v10
	s_waitcnt lgkmcnt(1)
	v_add_f32_e32 v8, v8, v11
	s_waitcnt lgkmcnt(0)
	v_add_f32_e32 v2, v2, v12
	;; [unrolled: 21-line block ×3, first 2 shown]
	v_cndmask_b32_e64 v3, v3, v14, s0
	ds_bpermute_b32 v9, v13, v6
	ds_bpermute_b32 v10, v13, v7
	;; [unrolled: 1-line block ×4, first 2 shown]
	v_and_b32_e32 v13, 8, v4
	s_delay_alu instid0(VALU_DEP_1)
	v_cmp_eq_u32_e32 vcc_lo, 0, v13
	v_cndmask_b32_e64 v6, -v6, v6, vcc_lo
	v_cndmask_b32_e64 v7, -v7, v7, vcc_lo
	;; [unrolled: 1-line block ×4, first 2 shown]
	s_waitcnt lgkmcnt(3)
	v_dual_add_f32 v6, v6, v9 :: v_dual_lshlrev_b32 v3, 2, v3
	s_waitcnt lgkmcnt(1)
	v_dual_add_f32 v7, v7, v10 :: v_dual_add_f32 v8, v8, v11
	s_waitcnt lgkmcnt(0)
	v_add_f32_e32 v2, v2, v12
	ds_bpermute_b32 v9, v3, v6
	ds_bpermute_b32 v10, v3, v7
	;; [unrolled: 1-line block ×4, first 2 shown]
	v_and_b32_e32 v4, 16, v4
	s_delay_alu instid0(VALU_DEP_1)
	v_cmp_eq_u32_e32 vcc_lo, 0, v4
	v_cndmask_b32_e64 v4, -v6, v6, vcc_lo
	v_cndmask_b32_e64 v6, -v7, v7, vcc_lo
	;; [unrolled: 1-line block ×4, first 2 shown]
	v_add_co_u32 v0, vcc_lo, s6, v0
	s_waitcnt lgkmcnt(3)
	v_add_f32_e32 v4, v4, v9
	s_waitcnt lgkmcnt(1)
	v_dual_add_f32 v6, v6, v10 :: v_dual_add_f32 v7, v7, v11
	s_waitcnt lgkmcnt(0)
	v_add_f32_e32 v2, v2, v3
	v_add_co_ci_u32_e32 v1, vcc_lo, s7, v1, vcc_lo
	s_delay_alu instid0(VALU_DEP_3) | instskip(SKIP_1) | instid1(VALU_DEP_4)
	v_add_f32_e32 v3, v4, v6
	v_sub_f32_e32 v4, v4, v6
	v_add_f32_e32 v6, v7, v2
	v_sub_f32_e32 v2, v7, v2
	v_add_co_u32 v0, vcc_lo, v0, v5
	v_add_co_ci_u32_e32 v1, vcc_lo, 0, v1, vcc_lo
	s_delay_alu instid0(VALU_DEP_4) | instskip(NEXT) | instid1(VALU_DEP_4)
	v_add_f32_e32 v5, v3, v6
	v_add_f32_e32 v7, v4, v2
	v_sub_f32_e32 v3, v3, v6
	v_sub_f32_e32 v2, v4, v2
	s_clause 0x3
	global_store_b32 v[0:1], v5, off
	global_store_b32 v[0:1], v7, off offset:128
	global_store_b32 v[0:1], v3, off offset:256
	;; [unrolled: 1-line block ×3, first 2 shown]
.LBB1_2:
	s_nop 0
	s_sendmsg sendmsg(MSG_DEALLOC_VGPRS)
	s_endpgm
	.section	.rodata,"a",@progbits
	.p2align	6, 0x0
	.amdhsa_kernel _Z9fwht_cudaILi128EEvPKfPflf
		.amdhsa_group_segment_fixed_size 0
		.amdhsa_private_segment_fixed_size 0
		.amdhsa_kernarg_size 288
		.amdhsa_user_sgpr_count 15
		.amdhsa_user_sgpr_dispatch_ptr 0
		.amdhsa_user_sgpr_queue_ptr 0
		.amdhsa_user_sgpr_kernarg_segment_ptr 1
		.amdhsa_user_sgpr_dispatch_id 0
		.amdhsa_user_sgpr_private_segment_size 0
		.amdhsa_wavefront_size32 1
		.amdhsa_uses_dynamic_stack 0
		.amdhsa_enable_private_segment 0
		.amdhsa_system_sgpr_workgroup_id_x 1
		.amdhsa_system_sgpr_workgroup_id_y 0
		.amdhsa_system_sgpr_workgroup_id_z 0
		.amdhsa_system_sgpr_workgroup_info 0
		.amdhsa_system_vgpr_workitem_id 1
		.amdhsa_next_free_vgpr 15
		.amdhsa_next_free_sgpr 16
		.amdhsa_reserve_vcc 1
		.amdhsa_float_round_mode_32 0
		.amdhsa_float_round_mode_16_64 0
		.amdhsa_float_denorm_mode_32 3
		.amdhsa_float_denorm_mode_16_64 3
		.amdhsa_dx10_clamp 1
		.amdhsa_ieee_mode 1
		.amdhsa_fp16_overflow 0
		.amdhsa_workgroup_processor_mode 1
		.amdhsa_memory_ordered 1
		.amdhsa_forward_progress 0
		.amdhsa_shared_vgpr_count 0
		.amdhsa_exception_fp_ieee_invalid_op 0
		.amdhsa_exception_fp_denorm_src 0
		.amdhsa_exception_fp_ieee_div_zero 0
		.amdhsa_exception_fp_ieee_overflow 0
		.amdhsa_exception_fp_ieee_underflow 0
		.amdhsa_exception_fp_ieee_inexact 0
		.amdhsa_exception_int_div_zero 0
	.end_amdhsa_kernel
	.section	.text._Z9fwht_cudaILi128EEvPKfPflf,"axG",@progbits,_Z9fwht_cudaILi128EEvPKfPflf,comdat
.Lfunc_end1:
	.size	_Z9fwht_cudaILi128EEvPKfPflf, .Lfunc_end1-_Z9fwht_cudaILi128EEvPKfPflf
                                        ; -- End function
	.section	.AMDGPU.csdata,"",@progbits
; Kernel info:
; codeLenInByte = 968
; NumSgprs: 18
; NumVgprs: 15
; ScratchSize: 0
; MemoryBound: 0
; FloatMode: 240
; IeeeMode: 1
; LDSByteSize: 0 bytes/workgroup (compile time only)
; SGPRBlocks: 2
; VGPRBlocks: 1
; NumSGPRsForWavesPerEU: 18
; NumVGPRsForWavesPerEU: 15
; Occupancy: 16
; WaveLimiterHint : 1
; COMPUTE_PGM_RSRC2:SCRATCH_EN: 0
; COMPUTE_PGM_RSRC2:USER_SGPR: 15
; COMPUTE_PGM_RSRC2:TRAP_HANDLER: 0
; COMPUTE_PGM_RSRC2:TGID_X_EN: 1
; COMPUTE_PGM_RSRC2:TGID_Y_EN: 0
; COMPUTE_PGM_RSRC2:TGID_Z_EN: 0
; COMPUTE_PGM_RSRC2:TIDIG_COMP_CNT: 1
	.section	.text._Z9fwht_cudaILi256EEvPKfPflf,"axG",@progbits,_Z9fwht_cudaILi256EEvPKfPflf,comdat
	.protected	_Z9fwht_cudaILi256EEvPKfPflf ; -- Begin function _Z9fwht_cudaILi256EEvPKfPflf
	.globl	_Z9fwht_cudaILi256EEvPKfPflf
	.p2align	8
	.type	_Z9fwht_cudaILi256EEvPKfPflf,@function
_Z9fwht_cudaILi256EEvPKfPflf:           ; @_Z9fwht_cudaILi256EEvPKfPflf
; %bb.0:
	s_clause 0x1
	s_load_b32 s4, s[0:1], 0x2c
	s_load_b64 s[2:3], s[0:1], 0x10
	v_bfe_u32 v3, v0, 10, 10
	v_mov_b32_e32 v4, 0
	s_waitcnt lgkmcnt(0)
	s_lshr_b32 s4, s4, 16
	s_delay_alu instid0(VALU_DEP_1) | instid1(SALU_CYCLE_1)
	v_mad_u64_u32 v[1:2], null, s4, s15, v[3:4]
	s_delay_alu instid0(VALU_DEP_1)
	v_cmp_gt_i64_e32 vcc_lo, s[2:3], v[1:2]
	s_and_saveexec_b32 s2, vcc_lo
	s_cbranch_execz .LBB2_2
; %bb.1:
	s_load_b128 s[4:7], s[0:1], 0x0
	v_and_b32_e32 v4, 0x3ff, v0
	v_lshlrev_b64 v[0:1], 10, v[1:2]
	s_load_b32 s0, s[0:1], 0x18
	s_delay_alu instid0(VALU_DEP_2) | instskip(SKIP_1) | instid1(VALU_DEP_2)
	v_lshlrev_b32_e32 v5, 2, v4
	s_waitcnt lgkmcnt(0)
	v_add_co_u32 v2, vcc_lo, s4, v0
	s_delay_alu instid0(VALU_DEP_3) | instskip(NEXT) | instid1(VALU_DEP_2)
	v_add_co_ci_u32_e32 v3, vcc_lo, s5, v1, vcc_lo
	v_add_co_u32 v2, vcc_lo, v2, v5
	s_delay_alu instid0(VALU_DEP_2)
	v_add_co_ci_u32_e32 v3, vcc_lo, 0, v3, vcc_lo
	s_clause 0x7
	global_load_b32 v6, v[2:3], off
	global_load_b32 v7, v[2:3], off offset:128
	global_load_b32 v8, v[2:3], off offset:256
	;; [unrolled: 1-line block ×7, first 2 shown]
	v_mbcnt_lo_u32_b32 v3, -1, 0
	s_delay_alu instid0(VALU_DEP_1)
	v_xor_b32_e32 v13, 1, v3
	v_xor_b32_e32 v15, 2, v3
	;; [unrolled: 1-line block ×5, first 2 shown]
	v_cmp_gt_i32_e32 vcc_lo, 32, v13
	v_dual_cndmask_b32 v13, v3, v13 :: v_dual_and_b32 v18, 4, v4
	v_and_b32_e32 v20, 8, v4
	v_cmp_gt_i32_e32 vcc_lo, 32, v15
	v_and_b32_e32 v14, 1, v4
	s_delay_alu instid0(VALU_DEP_4) | instskip(SKIP_3) | instid1(VALU_DEP_3)
	v_lshlrev_b32_e32 v13, 2, v13
	v_cndmask_b32_e32 v15, v3, v15, vcc_lo
	v_cmp_gt_i32_e32 vcc_lo, 32, v17
	v_and_b32_e32 v16, 2, v4
	v_lshlrev_b32_e32 v15, 2, v15
	v_cndmask_b32_e32 v17, v3, v17, vcc_lo
	v_cmp_eq_u32_e32 vcc_lo, 0, v14
	s_waitcnt vmcnt(6)
	v_dual_mul_f32 v6, s0, v6 :: v_dual_mul_f32 v7, s0, v7
	s_waitcnt vmcnt(4)
	v_dual_mul_f32 v8, s0, v8 :: v_dual_mul_f32 v9, s0, v9
	;; [unrolled: 2-line block ×3, first 2 shown]
	ds_bpermute_b32 v22, v13, v6
	ds_bpermute_b32 v23, v13, v7
	;; [unrolled: 1-line block ×3, first 2 shown]
	s_waitcnt vmcnt(1)
	v_mul_f32_e32 v12, s0, v12
	v_cndmask_b32_e64 v6, -v6, v6, vcc_lo
	v_cndmask_b32_e64 v7, -v7, v7, vcc_lo
	s_waitcnt vmcnt(0)
	v_mul_f32_e32 v2, s0, v2
	v_cndmask_b32_e64 v9, -v9, v9, vcc_lo
	ds_bpermute_b32 v24, v13, v8
	ds_bpermute_b32 v26, v13, v10
	;; [unrolled: 1-line block ×4, first 2 shown]
	v_cmp_gt_i32_e64 s0, 32, v19
	v_cndmask_b32_e64 v8, -v8, v8, vcc_lo
	v_cndmask_b32_e64 v10, -v10, v10, vcc_lo
	;; [unrolled: 1-line block ×4, first 2 shown]
	v_cndmask_b32_e64 v14, v3, v19, s0
	v_cmp_gt_i32_e64 s0, 32, v21
	s_waitcnt lgkmcnt(5)
	v_dual_add_f32 v6, v6, v22 :: v_dual_add_f32 v7, v7, v23
	s_waitcnt lgkmcnt(4)
	v_add_f32_e32 v9, v9, v25
	ds_bpermute_b32 v13, v13, v2
	v_cndmask_b32_e64 v2, -v2, v2, vcc_lo
	v_cmp_eq_u32_e32 vcc_lo, 0, v16
	ds_bpermute_b32 v19, v15, v7
	ds_bpermute_b32 v23, v15, v9
	s_waitcnt lgkmcnt(6)
	v_add_f32_e32 v8, v8, v24
	v_cndmask_b32_e64 v3, v3, v21, s0
	s_waitcnt lgkmcnt(4)
	v_add_f32_e32 v11, v11, v27
	v_cndmask_b32_e64 v7, -v7, v7, vcc_lo
	v_add_f32_e32 v10, v10, v26
	v_cndmask_b32_e64 v9, -v9, v9, vcc_lo
	s_waitcnt lgkmcnt(3)
	v_add_f32_e32 v12, v12, v28
	ds_bpermute_b32 v22, v15, v8
	ds_bpermute_b32 v25, v15, v11
	v_lshlrev_b32_e32 v16, 2, v17
	v_cndmask_b32_e64 v8, -v8, v8, vcc_lo
	v_cndmask_b32_e64 v11, -v11, v11, vcc_lo
	v_lshlrev_b32_e32 v3, 2, v3
	v_lshlrev_b32_e32 v14, 2, v14
	v_add_co_u32 v0, s0, s6, v0
	s_waitcnt lgkmcnt(4)
	v_add_f32_e32 v2, v2, v13
	ds_bpermute_b32 v13, v15, v6
	s_waitcnt lgkmcnt(4)
	v_add_f32_e32 v7, v7, v19
	ds_bpermute_b32 v24, v15, v10
	;; [unrolled: 3-line block ×3, first 2 shown]
	ds_bpermute_b32 v15, v15, v2
	v_cndmask_b32_e64 v2, -v2, v2, vcc_lo
	v_cndmask_b32_e64 v6, -v6, v6, vcc_lo
	;; [unrolled: 1-line block ×4, first 2 shown]
	v_cmp_eq_u32_e32 vcc_lo, 0, v18
	s_waitcnt lgkmcnt(4)
	v_dual_add_f32 v8, v8, v22 :: v_dual_add_f32 v11, v11, v25
	v_add_co_ci_u32_e64 v1, s0, s7, v1, s0
	v_add_co_u32 v0, s0, v0, v5
	s_delay_alu instid0(VALU_DEP_1)
	v_add_co_ci_u32_e64 v1, s0, 0, v1, s0
	s_waitcnt lgkmcnt(0)
	v_add_f32_e32 v2, v2, v15
	ds_bpermute_b32 v15, v16, v7
	v_cndmask_b32_e64 v7, -v7, v7, vcc_lo
	s_waitcnt lgkmcnt(0)
	s_delay_alu instid0(VALU_DEP_1)
	v_add_f32_e32 v7, v7, v15
	ds_bpermute_b32 v19, v16, v9
	ds_bpermute_b32 v22, v16, v11
	;; [unrolled: 1-line block ×3, first 2 shown]
	v_cndmask_b32_e64 v9, -v9, v9, vcc_lo
	v_cndmask_b32_e64 v11, -v11, v11, vcc_lo
	v_add_f32_e32 v6, v6, v13
	v_add_f32_e32 v10, v10, v24
	v_cndmask_b32_e64 v8, -v8, v8, vcc_lo
	ds_bpermute_b32 v15, v14, v7
	v_add_f32_e32 v12, v12, v26
	ds_bpermute_b32 v23, v16, v12
	v_cndmask_b32_e64 v12, -v12, v12, vcc_lo
	s_waitcnt lgkmcnt(4)
	v_add_f32_e32 v9, v9, v19
	s_waitcnt lgkmcnt(2)
	v_dual_add_f32 v11, v11, v22 :: v_dual_add_f32 v8, v8, v17
	ds_bpermute_b32 v13, v16, v6
	ds_bpermute_b32 v21, v16, v10
	;; [unrolled: 1-line block ×5, first 2 shown]
	v_cndmask_b32_e64 v6, -v6, v6, vcc_lo
	v_cndmask_b32_e64 v10, -v10, v10, vcc_lo
	v_cndmask_b32_e64 v2, -v2, v2, vcc_lo
	v_cmp_eq_u32_e32 vcc_lo, 0, v20
	v_cndmask_b32_e64 v9, -v9, v9, vcc_lo
	v_cndmask_b32_e64 v11, -v11, v11, vcc_lo
	v_and_b32_e32 v4, 16, v4
	v_cndmask_b32_e64 v7, -v7, v7, vcc_lo
	s_waitcnt lgkmcnt(3)
	v_add_f32_e32 v10, v10, v21
	s_waitcnt lgkmcnt(2)
	v_add_f32_e32 v9, v9, v17
	s_waitcnt lgkmcnt(0)
	v_dual_add_f32 v11, v11, v19 :: v_dual_add_f32 v2, v2, v16
	v_add_f32_e32 v7, v7, v15
	ds_bpermute_b32 v16, v14, v8
	ds_bpermute_b32 v15, v3, v9
	v_add_f32_e32 v6, v6, v13
	ds_bpermute_b32 v17, v3, v11
	v_add_f32_e32 v12, v12, v23
	ds_bpermute_b32 v18, v14, v10
	v_cndmask_b32_e64 v8, -v8, v8, vcc_lo
	ds_bpermute_b32 v13, v14, v6
	v_cndmask_b32_e64 v6, -v6, v6, vcc_lo
	ds_bpermute_b32 v20, v14, v12
	ds_bpermute_b32 v14, v14, v2
	v_cndmask_b32_e64 v10, -v10, v10, vcc_lo
	v_cndmask_b32_e64 v12, -v12, v12, vcc_lo
	;; [unrolled: 1-line block ×3, first 2 shown]
	v_cmp_eq_u32_e32 vcc_lo, 0, v4
	s_waitcnt lgkmcnt(6)
	v_add_f32_e32 v8, v8, v16
	s_waitcnt lgkmcnt(3)
	v_add_f32_e32 v10, v10, v18
	;; [unrolled: 2-line block ×3, first 2 shown]
	ds_bpermute_b32 v13, v3, v7
	s_waitcnt lgkmcnt(2)
	v_add_f32_e32 v12, v12, v20
	s_waitcnt lgkmcnt(1)
	v_add_f32_e32 v2, v2, v14
	ds_bpermute_b32 v14, v3, v8
	ds_bpermute_b32 v4, v3, v6
	;; [unrolled: 1-line block ×5, first 2 shown]
	v_cndmask_b32_e64 v5, -v6, v6, vcc_lo
	v_cndmask_b32_e64 v6, -v7, v7, vcc_lo
	;; [unrolled: 1-line block ×8, first 2 shown]
	s_waitcnt lgkmcnt(3)
	v_dual_add_f32 v4, v5, v4 :: v_dual_add_f32 v5, v6, v13
	v_dual_add_f32 v6, v7, v14 :: v_dual_add_f32 v7, v8, v15
	s_waitcnt lgkmcnt(2)
	v_dual_add_f32 v8, v9, v16 :: v_dual_add_f32 v9, v10, v17
	s_waitcnt lgkmcnt(1)
	v_add_f32_e32 v10, v11, v18
	s_waitcnt lgkmcnt(0)
	v_dual_add_f32 v2, v2, v3 :: v_dual_add_f32 v3, v4, v5
	v_dual_sub_f32 v4, v4, v5 :: v_dual_add_f32 v5, v6, v7
	v_dual_sub_f32 v6, v6, v7 :: v_dual_add_f32 v7, v8, v9
	s_delay_alu instid0(VALU_DEP_3) | instskip(SKIP_1) | instid1(VALU_DEP_4)
	v_dual_sub_f32 v8, v8, v9 :: v_dual_add_f32 v9, v10, v2
	v_sub_f32_e32 v2, v10, v2
	v_add_f32_e32 v10, v3, v5
	v_sub_f32_e32 v3, v3, v5
	v_add_f32_e32 v5, v4, v6
	v_dual_add_f32 v11, v7, v9 :: v_dual_sub_f32 v4, v4, v6
	v_dual_add_f32 v6, v8, v2 :: v_dual_sub_f32 v7, v7, v9
	v_sub_f32_e32 v2, v8, v2
	s_delay_alu instid0(VALU_DEP_3) | instskip(NEXT) | instid1(VALU_DEP_3)
	v_add_f32_e32 v8, v10, v11
	v_dual_sub_f32 v9, v10, v11 :: v_dual_add_f32 v10, v5, v6
	s_delay_alu instid0(VALU_DEP_4)
	v_dual_sub_f32 v5, v5, v6 :: v_dual_add_f32 v6, v3, v7
	v_sub_f32_e32 v3, v3, v7
	v_add_f32_e32 v7, v4, v2
	v_sub_f32_e32 v2, v4, v2
	s_clause 0x7
	global_store_b32 v[0:1], v8, off
	global_store_b32 v[0:1], v10, off offset:128
	global_store_b32 v[0:1], v6, off offset:256
	;; [unrolled: 1-line block ×7, first 2 shown]
.LBB2_2:
	s_nop 0
	s_sendmsg sendmsg(MSG_DEALLOC_VGPRS)
	s_endpgm
	.section	.rodata,"a",@progbits
	.p2align	6, 0x0
	.amdhsa_kernel _Z9fwht_cudaILi256EEvPKfPflf
		.amdhsa_group_segment_fixed_size 0
		.amdhsa_private_segment_fixed_size 0
		.amdhsa_kernarg_size 288
		.amdhsa_user_sgpr_count 15
		.amdhsa_user_sgpr_dispatch_ptr 0
		.amdhsa_user_sgpr_queue_ptr 0
		.amdhsa_user_sgpr_kernarg_segment_ptr 1
		.amdhsa_user_sgpr_dispatch_id 0
		.amdhsa_user_sgpr_private_segment_size 0
		.amdhsa_wavefront_size32 1
		.amdhsa_uses_dynamic_stack 0
		.amdhsa_enable_private_segment 0
		.amdhsa_system_sgpr_workgroup_id_x 1
		.amdhsa_system_sgpr_workgroup_id_y 0
		.amdhsa_system_sgpr_workgroup_id_z 0
		.amdhsa_system_sgpr_workgroup_info 0
		.amdhsa_system_vgpr_workitem_id 1
		.amdhsa_next_free_vgpr 29
		.amdhsa_next_free_sgpr 16
		.amdhsa_reserve_vcc 1
		.amdhsa_float_round_mode_32 0
		.amdhsa_float_round_mode_16_64 0
		.amdhsa_float_denorm_mode_32 3
		.amdhsa_float_denorm_mode_16_64 3
		.amdhsa_dx10_clamp 1
		.amdhsa_ieee_mode 1
		.amdhsa_fp16_overflow 0
		.amdhsa_workgroup_processor_mode 1
		.amdhsa_memory_ordered 1
		.amdhsa_forward_progress 0
		.amdhsa_shared_vgpr_count 0
		.amdhsa_exception_fp_ieee_invalid_op 0
		.amdhsa_exception_fp_denorm_src 0
		.amdhsa_exception_fp_ieee_div_zero 0
		.amdhsa_exception_fp_ieee_overflow 0
		.amdhsa_exception_fp_ieee_underflow 0
		.amdhsa_exception_fp_ieee_inexact 0
		.amdhsa_exception_int_div_zero 0
	.end_amdhsa_kernel
	.section	.text._Z9fwht_cudaILi256EEvPKfPflf,"axG",@progbits,_Z9fwht_cudaILi256EEvPKfPflf,comdat
.Lfunc_end2:
	.size	_Z9fwht_cudaILi256EEvPKfPflf, .Lfunc_end2-_Z9fwht_cudaILi256EEvPKfPflf
                                        ; -- End function
	.section	.AMDGPU.csdata,"",@progbits
; Kernel info:
; codeLenInByte = 1544
; NumSgprs: 18
; NumVgprs: 29
; ScratchSize: 0
; MemoryBound: 0
; FloatMode: 240
; IeeeMode: 1
; LDSByteSize: 0 bytes/workgroup (compile time only)
; SGPRBlocks: 2
; VGPRBlocks: 3
; NumSGPRsForWavesPerEU: 18
; NumVGPRsForWavesPerEU: 29
; Occupancy: 16
; WaveLimiterHint : 1
; COMPUTE_PGM_RSRC2:SCRATCH_EN: 0
; COMPUTE_PGM_RSRC2:USER_SGPR: 15
; COMPUTE_PGM_RSRC2:TRAP_HANDLER: 0
; COMPUTE_PGM_RSRC2:TGID_X_EN: 1
; COMPUTE_PGM_RSRC2:TGID_Y_EN: 0
; COMPUTE_PGM_RSRC2:TGID_Z_EN: 0
; COMPUTE_PGM_RSRC2:TIDIG_COMP_CNT: 1
	.section	.text._Z9fwht_cudaILi512EEvPKfPflf,"axG",@progbits,_Z9fwht_cudaILi512EEvPKfPflf,comdat
	.protected	_Z9fwht_cudaILi512EEvPKfPflf ; -- Begin function _Z9fwht_cudaILi512EEvPKfPflf
	.globl	_Z9fwht_cudaILi512EEvPKfPflf
	.p2align	8
	.type	_Z9fwht_cudaILi512EEvPKfPflf,@function
_Z9fwht_cudaILi512EEvPKfPflf:           ; @_Z9fwht_cudaILi512EEvPKfPflf
; %bb.0:
	s_clause 0x1
	s_load_b32 s4, s[0:1], 0x2c
	s_load_b64 s[2:3], s[0:1], 0x10
	v_bfe_u32 v3, v0, 10, 10
	v_mov_b32_e32 v4, 0
	s_waitcnt lgkmcnt(0)
	s_lshr_b32 s4, s4, 16
	s_delay_alu instid0(VALU_DEP_1) | instid1(SALU_CYCLE_1)
	v_mad_u64_u32 v[1:2], null, s4, s15, v[3:4]
	s_delay_alu instid0(VALU_DEP_1)
	v_cmp_gt_i64_e32 vcc_lo, s[2:3], v[1:2]
	s_and_saveexec_b32 s2, vcc_lo
	s_cbranch_execz .LBB3_2
; %bb.1:
	s_load_b128 s[4:7], s[0:1], 0x0
	v_and_b32_e32 v4, 0x3ff, v0
	v_lshlrev_b64 v[0:1], 11, v[1:2]
	s_load_b32 s0, s[0:1], 0x18
	s_delay_alu instid0(VALU_DEP_2) | instskip(SKIP_1) | instid1(VALU_DEP_2)
	v_lshlrev_b32_e32 v5, 2, v4
	s_waitcnt lgkmcnt(0)
	v_add_co_u32 v2, vcc_lo, s4, v0
	s_delay_alu instid0(VALU_DEP_3) | instskip(NEXT) | instid1(VALU_DEP_2)
	v_add_co_ci_u32_e32 v3, vcc_lo, s5, v1, vcc_lo
	v_add_co_u32 v2, vcc_lo, v2, v5
	s_delay_alu instid0(VALU_DEP_2)
	v_add_co_ci_u32_e32 v3, vcc_lo, 0, v3, vcc_lo
	s_clause 0xf
	global_load_b32 v6, v[2:3], off
	global_load_b32 v7, v[2:3], off offset:128
	global_load_b32 v8, v[2:3], off offset:256
	;; [unrolled: 1-line block ×15, first 2 shown]
	v_mbcnt_lo_u32_b32 v3, -1, 0
	s_delay_alu instid0(VALU_DEP_1)
	v_xor_b32_e32 v21, 1, v3
	v_xor_b32_e32 v23, 2, v3
	;; [unrolled: 1-line block ×5, first 2 shown]
	v_cmp_gt_i32_e32 vcc_lo, 32, v21
	v_cndmask_b32_e32 v21, v3, v21, vcc_lo
	v_cmp_gt_i32_e32 vcc_lo, 32, v23
	v_and_b32_e32 v22, 1, v4
	s_delay_alu instid0(VALU_DEP_3) | instskip(SKIP_3) | instid1(VALU_DEP_3)
	v_lshlrev_b32_e32 v21, 2, v21
	v_cndmask_b32_e32 v23, v3, v23, vcc_lo
	v_cmp_gt_i32_e32 vcc_lo, 32, v25
	v_and_b32_e32 v24, 2, v4
	v_lshlrev_b32_e32 v23, 2, v23
	v_cndmask_b32_e32 v25, v3, v25, vcc_lo
	v_cmp_gt_i32_e32 vcc_lo, 32, v27
	v_and_b32_e32 v26, 4, v4
	s_delay_alu instid0(VALU_DEP_3) | instskip(SKIP_4) | instid1(VALU_DEP_4)
	v_lshlrev_b32_e32 v25, 2, v25
	v_cndmask_b32_e32 v27, v3, v27, vcc_lo
	v_cmp_gt_i32_e32 vcc_lo, 32, v29
	v_and_b32_e32 v28, 8, v4
	v_and_b32_e32 v4, 16, v4
	v_lshlrev_b32_e32 v27, 2, v27
	v_cndmask_b32_e32 v3, v3, v29, vcc_lo
	v_add_co_u32 v0, vcc_lo, s6, v0
	v_add_co_ci_u32_e32 v1, vcc_lo, s7, v1, vcc_lo
	s_delay_alu instid0(VALU_DEP_3) | instskip(NEXT) | instid1(VALU_DEP_3)
	v_lshlrev_b32_e32 v3, 2, v3
	v_add_co_u32 v0, vcc_lo, v0, v5
	s_delay_alu instid0(VALU_DEP_3)
	v_add_co_ci_u32_e32 v1, vcc_lo, 0, v1, vcc_lo
	v_cmp_eq_u32_e32 vcc_lo, 0, v22
	s_waitcnt vmcnt(14)
	v_dual_mul_f32 v5, s0, v6 :: v_dual_mul_f32 v6, s0, v7
	s_waitcnt vmcnt(12)
	v_dual_mul_f32 v7, s0, v8 :: v_dual_mul_f32 v8, s0, v9
	;; [unrolled: 2-line block ×5, first 2 shown]
	ds_bpermute_b32 v22, v21, v6
	v_cndmask_b32_e64 v6, -v6, v6, vcc_lo
	s_waitcnt vmcnt(4)
	v_dual_mul_f32 v15, s0, v16 :: v_dual_mul_f32 v16, s0, v17
	s_waitcnt vmcnt(2)
	v_dual_mul_f32 v17, s0, v18 :: v_dual_mul_f32 v18, s0, v19
	ds_bpermute_b32 v30, v21, v8
	ds_bpermute_b32 v32, v21, v10
	;; [unrolled: 1-line block ×3, first 2 shown]
	s_waitcnt vmcnt(0)
	v_mul_f32_e32 v2, s0, v2
	ds_bpermute_b32 v40, v21, v18
	v_cndmask_b32_e64 v8, -v8, v8, vcc_lo
	v_mul_f32_e32 v19, s0, v20
	ds_bpermute_b32 v20, v21, v5
	v_cndmask_b32_e64 v10, -v10, v10, vcc_lo
	ds_bpermute_b32 v34, v21, v12
	v_cndmask_b32_e64 v14, -v14, v14, vcc_lo
	v_cndmask_b32_e64 v18, -v18, v18, vcc_lo
	ds_bpermute_b32 v29, v21, v7
	ds_bpermute_b32 v33, v21, v11
	;; [unrolled: 1-line block ×3, first 2 shown]
	s_waitcnt lgkmcnt(9)
	v_add_f32_e32 v6, v6, v22
	ds_bpermute_b32 v37, v21, v15
	v_cndmask_b32_e64 v5, -v5, v5, vcc_lo
	v_cndmask_b32_e64 v12, -v12, v12, vcc_lo
	;; [unrolled: 1-line block ×3, first 2 shown]
	s_waitcnt lgkmcnt(9)
	v_add_f32_e32 v8, v8, v30
	ds_bpermute_b32 v41, v21, v19
	s_waitcnt lgkmcnt(9)
	v_add_f32_e32 v10, v10, v32
	ds_bpermute_b32 v31, v21, v9
	;; [unrolled: 3-line block ×4, first 2 shown]
	ds_bpermute_b32 v21, v21, v2
	v_cndmask_b32_e64 v9, -v9, v9, vcc_lo
	v_cndmask_b32_e64 v2, -v2, v2, vcc_lo
	s_waitcnt lgkmcnt(9)
	v_dual_add_f32 v5, v5, v20 :: v_dual_add_f32 v12, v12, v34
	v_cndmask_b32_e64 v11, -v11, v11, vcc_lo
	v_cndmask_b32_e64 v13, -v13, v13, vcc_lo
	;; [unrolled: 1-line block ×6, first 2 shown]
	v_cmp_eq_u32_e32 vcc_lo, 0, v24
	ds_bpermute_b32 v24, v23, v8
	ds_bpermute_b32 v30, v23, v10
	;; [unrolled: 1-line block ×3, first 2 shown]
	s_waitcnt lgkmcnt(6)
	v_add_f32_e32 v9, v9, v31
	ds_bpermute_b32 v34, v23, v14
	v_dual_add_f32 v7, v7, v29 :: v_dual_add_f32 v16, v16, v38
	v_cndmask_b32_e64 v8, -v8, v8, vcc_lo
	s_waitcnt lgkmcnt(4)
	v_add_f32_e32 v2, v2, v21
	ds_bpermute_b32 v21, v23, v6
	v_add_f32_e32 v11, v11, v33
	v_cndmask_b32_e64 v6, -v6, v6, vcc_lo
	v_add_f32_e32 v13, v13, v35
	v_cndmask_b32_e64 v10, -v10, v10, vcc_lo
	;; [unrolled: 2-line block ×4, first 2 shown]
	v_add_f32_e32 v19, v19, v41
	ds_bpermute_b32 v20, v23, v5
	ds_bpermute_b32 v22, v23, v7
	ds_bpermute_b32 v29, v23, v9
	ds_bpermute_b32 v36, v23, v16
	ds_bpermute_b32 v38, v23, v18
	s_waitcnt lgkmcnt(6)
	v_add_f32_e32 v14, v14, v34
	ds_bpermute_b32 v39, v23, v19
	v_add_f32_e32 v8, v8, v24
	ds_bpermute_b32 v31, v23, v11
	v_add_f32_e32 v10, v10, v30
	ds_bpermute_b32 v35, v23, v15
	s_waitcnt lgkmcnt(8)
	v_add_f32_e32 v6, v6, v21
	ds_bpermute_b32 v33, v23, v13
	v_add_f32_e32 v12, v12, v32
	ds_bpermute_b32 v37, v23, v17
	ds_bpermute_b32 v23, v23, v2
	v_cndmask_b32_e64 v9, -v9, v9, vcc_lo
	v_cndmask_b32_e64 v2, -v2, v2, vcc_lo
	;; [unrolled: 1-line block ×11, first 2 shown]
	s_waitcnt lgkmcnt(8)
	v_add_f32_e32 v9, v9, v29
	v_cmp_eq_u32_e32 vcc_lo, 0, v26
	ds_bpermute_b32 v21, v25, v6
	ds_bpermute_b32 v26, v25, v10
	;; [unrolled: 1-line block ×4, first 2 shown]
	s_waitcnt lgkmcnt(10)
	v_dual_add_f32 v5, v5, v20 :: v_dual_add_f32 v18, v18, v38
	s_waitcnt lgkmcnt(4)
	v_add_f32_e32 v2, v2, v23
	ds_bpermute_b32 v23, v25, v8
	v_dual_add_f32 v7, v7, v22 :: v_dual_add_f32 v16, v16, v36
	ds_bpermute_b32 v20, v25, v5
	v_cndmask_b32_e64 v6, -v6, v6, vcc_lo
	v_add_f32_e32 v11, v11, v31
	ds_bpermute_b32 v22, v25, v7
	v_cndmask_b32_e64 v8, -v8, v8, vcc_lo
	v_add_f32_e32 v13, v13, v33
	v_cndmask_b32_e64 v10, -v10, v10, vcc_lo
	v_add_f32_e32 v15, v15, v35
	;; [unrolled: 2-line block ×4, first 2 shown]
	ds_bpermute_b32 v34, v25, v16
	ds_bpermute_b32 v36, v25, v18
	ds_bpermute_b32 v24, v25, v9
	s_waitcnt lgkmcnt(6)
	v_add_f32_e32 v14, v14, v32
	ds_bpermute_b32 v37, v25, v19
	v_add_f32_e32 v6, v6, v21
	ds_bpermute_b32 v29, v25, v11
	s_waitcnt lgkmcnt(7)
	v_add_f32_e32 v8, v8, v23
	ds_bpermute_b32 v31, v25, v13
	v_add_f32_e32 v10, v10, v26
	ds_bpermute_b32 v33, v25, v15
	;; [unrolled: 2-line block ×3, first 2 shown]
	ds_bpermute_b32 v25, v25, v2
	v_cndmask_b32_e64 v5, -v5, v5, vcc_lo
	v_cndmask_b32_e64 v7, -v7, v7, vcc_lo
	;; [unrolled: 1-line block ×5, first 2 shown]
	s_waitcnt lgkmcnt(10)
	v_add_f32_e32 v5, v5, v20
	v_cndmask_b32_e64 v2, -v2, v2, vcc_lo
	s_waitcnt lgkmcnt(8)
	v_add_f32_e32 v16, v16, v34
	s_waitcnt lgkmcnt(7)
	v_dual_add_f32 v7, v7, v22 :: v_dual_add_f32 v18, v18, v36
	ds_bpermute_b32 v20, v27, v5
	ds_bpermute_b32 v23, v27, v8
	v_cndmask_b32_e64 v11, -v11, v11, vcc_lo
	v_cndmask_b32_e64 v13, -v13, v13, vcc_lo
	;; [unrolled: 1-line block ×5, first 2 shown]
	s_waitcnt lgkmcnt(8)
	v_add_f32_e32 v9, v9, v24
	v_cmp_eq_u32_e32 vcc_lo, 0, v28
	s_waitcnt lgkmcnt(2)
	v_add_f32_e32 v2, v2, v25
	ds_bpermute_b32 v21, v27, v6
	ds_bpermute_b32 v25, v27, v10
	;; [unrolled: 1-line block ×5, first 2 shown]
	v_cndmask_b32_e64 v5, -v5, v5, vcc_lo
	v_cndmask_b32_e64 v8, -v8, v8, vcc_lo
	v_add_f32_e32 v11, v11, v29
	v_cndmask_b32_e64 v6, -v6, v6, vcc_lo
	v_add_f32_e32 v13, v13, v31
	ds_bpermute_b32 v24, v27, v9
	v_cndmask_b32_e64 v10, -v10, v10, vcc_lo
	v_add_f32_e32 v17, v17, v35
	v_cndmask_b32_e64 v12, -v12, v12, vcc_lo
	v_add_f32_e32 v15, v15, v33
	;; [unrolled: 2-line block ×3, first 2 shown]
	v_cndmask_b32_e64 v18, -v18, v18, vcc_lo
	s_waitcnt lgkmcnt(6)
	v_dual_add_f32 v5, v5, v20 :: v_dual_add_f32 v8, v8, v23
	ds_bpermute_b32 v26, v27, v11
	ds_bpermute_b32 v22, v27, v7
	v_cndmask_b32_e64 v7, -v7, v7, vcc_lo
	v_cndmask_b32_e64 v9, -v9, v9, vcc_lo
	s_waitcnt lgkmcnt(3)
	v_add_f32_e32 v18, v18, v34
	v_cndmask_b32_e64 v11, -v11, v11, vcc_lo
	ds_bpermute_b32 v32, v27, v16
	v_cndmask_b32_e64 v16, -v16, v16, vcc_lo
	v_add_f32_e32 v6, v6, v21
	ds_bpermute_b32 v29, v27, v13
	v_cndmask_b32_e64 v13, -v13, v13, vcc_lo
	v_add_f32_e32 v10, v10, v25
	ds_bpermute_b32 v33, v27, v17
	v_cndmask_b32_e64 v17, -v17, v17, vcc_lo
	v_add_f32_e32 v12, v12, v28
	ds_bpermute_b32 v31, v27, v15
	v_cndmask_b32_e64 v15, -v15, v15, vcc_lo
	v_add_f32_e32 v14, v14, v30
	ds_bpermute_b32 v35, v27, v19
	ds_bpermute_b32 v27, v27, v2
	v_cndmask_b32_e64 v19, -v19, v19, vcc_lo
	v_cndmask_b32_e64 v2, -v2, v2, vcc_lo
	v_cmp_eq_u32_e32 vcc_lo, 0, v4
	ds_bpermute_b32 v4, v3, v5
	s_waitcnt lgkmcnt(9)
	v_add_f32_e32 v9, v9, v24
	ds_bpermute_b32 v20, v3, v6
	ds_bpermute_b32 v24, v3, v10
	v_cndmask_b32_e64 v5, -v5, v5, vcc_lo
	s_waitcnt lgkmcnt(10)
	v_add_f32_e32 v11, v11, v26
	s_waitcnt lgkmcnt(8)
	v_dual_add_f32 v7, v7, v22 :: v_dual_add_f32 v16, v16, v32
	ds_bpermute_b32 v22, v3, v8
	v_cndmask_b32_e64 v6, -v6, v6, vcc_lo
	v_cndmask_b32_e64 v10, -v10, v10, vcc_lo
	s_waitcnt lgkmcnt(7)
	v_add_f32_e32 v17, v17, v33
	v_cndmask_b32_e64 v8, -v8, v8, vcc_lo
	v_add_f32_e32 v13, v13, v29
	ds_bpermute_b32 v21, v3, v7
	ds_bpermute_b32 v26, v3, v12
	s_waitcnt lgkmcnt(6)
	v_add_f32_e32 v2, v2, v27
	ds_bpermute_b32 v23, v3, v9
	v_cndmask_b32_e64 v9, -v9, v9, vcc_lo
	ds_bpermute_b32 v28, v3, v14
	s_waitcnt lgkmcnt(7)
	v_add_f32_e32 v4, v5, v4
	ds_bpermute_b32 v25, v3, v11
	v_cndmask_b32_e64 v11, -v11, v11, vcc_lo
	s_waitcnt lgkmcnt(7)
	v_add_f32_e32 v5, v6, v20
	ds_bpermute_b32 v30, v3, v16
	ds_bpermute_b32 v32, v3, v18
	v_cndmask_b32_e64 v7, -v7, v7, vcc_lo
	v_cndmask_b32_e64 v12, -v12, v12, vcc_lo
	s_waitcnt lgkmcnt(7)
	v_add_f32_e32 v8, v8, v22
	ds_bpermute_b32 v27, v3, v13
	v_cndmask_b32_e64 v13, -v13, v13, vcc_lo
	v_cndmask_b32_e64 v14, -v14, v14, vcc_lo
	;; [unrolled: 1-line block ×4, first 2 shown]
	s_waitcnt lgkmcnt(5)
	v_add_f32_e32 v6, v9, v23
	v_add_f32_e32 v15, v15, v31
	;; [unrolled: 1-line block ×3, first 2 shown]
	ds_bpermute_b32 v31, v3, v17
	s_waitcnt lgkmcnt(4)
	v_add_f32_e32 v10, v11, v25
	v_add_f32_e32 v19, v19, v35
	ds_bpermute_b32 v29, v3, v15
	v_add_f32_e32 v11, v12, v26
	ds_bpermute_b32 v33, v3, v19
	ds_bpermute_b32 v3, v3, v2
	s_waitcnt lgkmcnt(4)
	v_add_f32_e32 v12, v13, v27
	v_cndmask_b32_e64 v2, -v2, v2, vcc_lo
	s_waitcnt lgkmcnt(0)
	s_delay_alu instid0(VALU_DEP_1)
	v_add_f32_e32 v2, v2, v3
	v_cndmask_b32_e64 v17, -v17, v17, vcc_lo
	v_add_f32_e32 v7, v7, v21
	v_add_f32_e32 v3, v4, v5
	v_sub_f32_e32 v4, v4, v5
	v_cndmask_b32_e64 v15, -v15, v15, vcc_lo
	s_delay_alu instid0(VALU_DEP_1) | instskip(SKIP_1) | instid1(VALU_DEP_2)
	v_dual_add_f32 v13, v14, v28 :: v_dual_add_f32 v14, v15, v29
	v_dual_add_f32 v15, v16, v30 :: v_dual_add_f32 v16, v17, v31
	v_dual_add_f32 v5, v7, v8 :: v_dual_sub_f32 v20, v12, v13
	v_dual_sub_f32 v7, v7, v8 :: v_dual_sub_f32 v8, v6, v9
	v_cndmask_b32_e64 v19, -v19, v19, vcc_lo
	s_delay_alu instid0(VALU_DEP_1) | instskip(SKIP_1) | instid1(VALU_DEP_2)
	v_dual_add_f32 v17, v18, v32 :: v_dual_add_f32 v18, v19, v33
	v_sub_f32_e32 v19, v10, v11
	v_dual_sub_f32 v21, v14, v15 :: v_dual_sub_f32 v22, v16, v17
	v_add_f32_e32 v6, v6, v9
	v_dual_add_f32 v9, v10, v11 :: v_dual_add_f32 v10, v12, v13
	v_dual_sub_f32 v23, v18, v2 :: v_dual_add_f32 v12, v16, v17
	v_add_f32_e32 v2, v18, v2
	v_add_f32_e32 v11, v14, v15
	v_sub_f32_e32 v13, v4, v7
	v_sub_f32_e32 v14, v8, v19
	v_dual_sub_f32 v16, v22, v23 :: v_dual_add_f32 v17, v3, v5
	v_add_f32_e32 v4, v4, v7
	v_add_f32_e32 v25, v12, v2
	;; [unrolled: 1-line block ×5, first 2 shown]
	v_sub_f32_e32 v2, v12, v2
	v_dual_sub_f32 v15, v20, v21 :: v_dual_add_f32 v24, v10, v11
	v_add_f32_e32 v19, v22, v23
	v_sub_f32_e32 v3, v3, v5
	v_sub_f32_e32 v5, v6, v9
	;; [unrolled: 1-line block ×4, first 2 shown]
	v_dual_add_f32 v20, v4, v7 :: v_dual_sub_f32 v9, v13, v14
	s_delay_alu instid0(VALU_DEP_4)
	v_dual_add_f32 v22, v3, v5 :: v_dual_add_f32 v11, v17, v18
	v_dual_add_f32 v12, v24, v25 :: v_dual_add_f32 v13, v13, v14
	v_sub_f32_e32 v4, v4, v7
	v_dual_add_f32 v14, v15, v16 :: v_dual_add_f32 v21, v8, v19
	v_dual_add_f32 v23, v6, v2 :: v_dual_sub_f32 v16, v24, v25
	v_sub_f32_e32 v15, v17, v18
	s_delay_alu instid0(VALU_DEP_3) | instskip(SKIP_2) | instid1(VALU_DEP_3)
	v_dual_sub_f32 v7, v8, v19 :: v_dual_add_f32 v18, v13, v14
	v_dual_sub_f32 v3, v3, v5 :: v_dual_sub_f32 v2, v6, v2
	v_add_f32_e32 v6, v11, v12
	v_dual_add_f32 v24, v4, v7 :: v_dual_sub_f32 v5, v9, v10
	v_dual_add_f32 v8, v20, v21 :: v_dual_add_f32 v17, v22, v23
	v_add_f32_e32 v19, v15, v16
	v_dual_add_f32 v25, v3, v2 :: v_dual_sub_f32 v4, v4, v7
	v_dual_add_f32 v9, v9, v10 :: v_dual_sub_f32 v10, v11, v12
	v_dual_sub_f32 v11, v20, v21 :: v_dual_sub_f32 v2, v3, v2
	v_dual_sub_f32 v12, v22, v23 :: v_dual_sub_f32 v13, v13, v14
	v_sub_f32_e32 v14, v15, v16
	s_clause 0xf
	global_store_b32 v[0:1], v6, off
	global_store_b32 v[0:1], v8, off offset:128
	global_store_b32 v[0:1], v17, off offset:256
	global_store_b32 v[0:1], v18, off offset:384
	global_store_b32 v[0:1], v19, off offset:512
	global_store_b32 v[0:1], v24, off offset:640
	global_store_b32 v[0:1], v25, off offset:768
	global_store_b32 v[0:1], v9, off offset:896
	global_store_b32 v[0:1], v10, off offset:1024
	global_store_b32 v[0:1], v11, off offset:1152
	global_store_b32 v[0:1], v12, off offset:1280
	global_store_b32 v[0:1], v13, off offset:1408
	global_store_b32 v[0:1], v14, off offset:1536
	global_store_b32 v[0:1], v4, off offset:1664
	global_store_b32 v[0:1], v2, off offset:1792
	global_store_b32 v[0:1], v5, off offset:1920
.LBB3_2:
	s_nop 0
	s_sendmsg sendmsg(MSG_DEALLOC_VGPRS)
	s_endpgm
	.section	.rodata,"a",@progbits
	.p2align	6, 0x0
	.amdhsa_kernel _Z9fwht_cudaILi512EEvPKfPflf
		.amdhsa_group_segment_fixed_size 0
		.amdhsa_private_segment_fixed_size 0
		.amdhsa_kernarg_size 288
		.amdhsa_user_sgpr_count 15
		.amdhsa_user_sgpr_dispatch_ptr 0
		.amdhsa_user_sgpr_queue_ptr 0
		.amdhsa_user_sgpr_kernarg_segment_ptr 1
		.amdhsa_user_sgpr_dispatch_id 0
		.amdhsa_user_sgpr_private_segment_size 0
		.amdhsa_wavefront_size32 1
		.amdhsa_uses_dynamic_stack 0
		.amdhsa_enable_private_segment 0
		.amdhsa_system_sgpr_workgroup_id_x 1
		.amdhsa_system_sgpr_workgroup_id_y 0
		.amdhsa_system_sgpr_workgroup_id_z 0
		.amdhsa_system_sgpr_workgroup_info 0
		.amdhsa_system_vgpr_workitem_id 1
		.amdhsa_next_free_vgpr 42
		.amdhsa_next_free_sgpr 16
		.amdhsa_reserve_vcc 1
		.amdhsa_float_round_mode_32 0
		.amdhsa_float_round_mode_16_64 0
		.amdhsa_float_denorm_mode_32 3
		.amdhsa_float_denorm_mode_16_64 3
		.amdhsa_dx10_clamp 1
		.amdhsa_ieee_mode 1
		.amdhsa_fp16_overflow 0
		.amdhsa_workgroup_processor_mode 1
		.amdhsa_memory_ordered 1
		.amdhsa_forward_progress 0
		.amdhsa_shared_vgpr_count 0
		.amdhsa_exception_fp_ieee_invalid_op 0
		.amdhsa_exception_fp_denorm_src 0
		.amdhsa_exception_fp_ieee_div_zero 0
		.amdhsa_exception_fp_ieee_overflow 0
		.amdhsa_exception_fp_ieee_underflow 0
		.amdhsa_exception_fp_ieee_inexact 0
		.amdhsa_exception_int_div_zero 0
	.end_amdhsa_kernel
	.section	.text._Z9fwht_cudaILi512EEvPKfPflf,"axG",@progbits,_Z9fwht_cudaILi512EEvPKfPflf,comdat
.Lfunc_end3:
	.size	_Z9fwht_cudaILi512EEvPKfPflf, .Lfunc_end3-_Z9fwht_cudaILi512EEvPKfPflf
                                        ; -- End function
	.section	.AMDGPU.csdata,"",@progbits
; Kernel info:
; codeLenInByte = 2700
; NumSgprs: 18
; NumVgprs: 42
; ScratchSize: 0
; MemoryBound: 0
; FloatMode: 240
; IeeeMode: 1
; LDSByteSize: 0 bytes/workgroup (compile time only)
; SGPRBlocks: 2
; VGPRBlocks: 5
; NumSGPRsForWavesPerEU: 18
; NumVGPRsForWavesPerEU: 42
; Occupancy: 16
; WaveLimiterHint : 1
; COMPUTE_PGM_RSRC2:SCRATCH_EN: 0
; COMPUTE_PGM_RSRC2:USER_SGPR: 15
; COMPUTE_PGM_RSRC2:TRAP_HANDLER: 0
; COMPUTE_PGM_RSRC2:TGID_X_EN: 1
; COMPUTE_PGM_RSRC2:TGID_Y_EN: 0
; COMPUTE_PGM_RSRC2:TGID_Z_EN: 0
; COMPUTE_PGM_RSRC2:TIDIG_COMP_CNT: 1
	.text
	.p2alignl 7, 3214868480
	.fill 96, 4, 3214868480
	.type	__hip_cuid_55f2ad0b9709c337,@object ; @__hip_cuid_55f2ad0b9709c337
	.section	.bss,"aw",@nobits
	.globl	__hip_cuid_55f2ad0b9709c337
__hip_cuid_55f2ad0b9709c337:
	.byte	0                               ; 0x0
	.size	__hip_cuid_55f2ad0b9709c337, 1

	.ident	"AMD clang version 19.0.0git (https://github.com/RadeonOpenCompute/llvm-project roc-6.4.0 25133 c7fe45cf4b819c5991fe208aaa96edf142730f1d)"
	.section	".note.GNU-stack","",@progbits
	.addrsig
	.addrsig_sym __hip_cuid_55f2ad0b9709c337
	.amdgpu_metadata
---
amdhsa.kernels:
  - .args:
      - .address_space:  global
        .offset:         0
        .size:           8
        .value_kind:     global_buffer
      - .address_space:  global
        .offset:         8
        .size:           8
        .value_kind:     global_buffer
      - .offset:         16
        .size:           8
        .value_kind:     by_value
      - .offset:         24
        .size:           4
        .value_kind:     by_value
      - .offset:         32
        .size:           4
        .value_kind:     hidden_block_count_x
      - .offset:         36
        .size:           4
        .value_kind:     hidden_block_count_y
      - .offset:         40
        .size:           4
        .value_kind:     hidden_block_count_z
      - .offset:         44
        .size:           2
        .value_kind:     hidden_group_size_x
      - .offset:         46
        .size:           2
        .value_kind:     hidden_group_size_y
      - .offset:         48
        .size:           2
        .value_kind:     hidden_group_size_z
      - .offset:         50
        .size:           2
        .value_kind:     hidden_remainder_x
      - .offset:         52
        .size:           2
        .value_kind:     hidden_remainder_y
      - .offset:         54
        .size:           2
        .value_kind:     hidden_remainder_z
      - .offset:         72
        .size:           8
        .value_kind:     hidden_global_offset_x
      - .offset:         80
        .size:           8
        .value_kind:     hidden_global_offset_y
      - .offset:         88
        .size:           8
        .value_kind:     hidden_global_offset_z
      - .offset:         96
        .size:           2
        .value_kind:     hidden_grid_dims
    .group_segment_fixed_size: 0
    .kernarg_segment_align: 8
    .kernarg_segment_size: 288
    .language:       OpenCL C
    .language_version:
      - 2
      - 0
    .max_flat_workgroup_size: 128
    .name:           _Z9fwht_cudaILi64EEvPKfPflf
    .private_segment_fixed_size: 0
    .sgpr_count:     18
    .sgpr_spill_count: 0
    .symbol:         _Z9fwht_cudaILi64EEvPKfPflf.kd
    .uniform_work_group_size: 1
    .uses_dynamic_stack: false
    .vgpr_count:     11
    .vgpr_spill_count: 0
    .wavefront_size: 32
    .workgroup_processor_mode: 1
  - .args:
      - .address_space:  global
        .offset:         0
        .size:           8
        .value_kind:     global_buffer
      - .address_space:  global
        .offset:         8
        .size:           8
        .value_kind:     global_buffer
      - .offset:         16
        .size:           8
        .value_kind:     by_value
      - .offset:         24
        .size:           4
        .value_kind:     by_value
      - .offset:         32
        .size:           4
        .value_kind:     hidden_block_count_x
      - .offset:         36
        .size:           4
        .value_kind:     hidden_block_count_y
      - .offset:         40
        .size:           4
        .value_kind:     hidden_block_count_z
      - .offset:         44
        .size:           2
        .value_kind:     hidden_group_size_x
      - .offset:         46
        .size:           2
        .value_kind:     hidden_group_size_y
      - .offset:         48
        .size:           2
        .value_kind:     hidden_group_size_z
      - .offset:         50
        .size:           2
        .value_kind:     hidden_remainder_x
      - .offset:         52
        .size:           2
        .value_kind:     hidden_remainder_y
      - .offset:         54
        .size:           2
        .value_kind:     hidden_remainder_z
      - .offset:         72
        .size:           8
        .value_kind:     hidden_global_offset_x
      - .offset:         80
        .size:           8
        .value_kind:     hidden_global_offset_y
      - .offset:         88
        .size:           8
        .value_kind:     hidden_global_offset_z
      - .offset:         96
        .size:           2
        .value_kind:     hidden_grid_dims
    .group_segment_fixed_size: 0
    .kernarg_segment_align: 8
    .kernarg_segment_size: 288
    .language:       OpenCL C
    .language_version:
      - 2
      - 0
    .max_flat_workgroup_size: 128
    .name:           _Z9fwht_cudaILi128EEvPKfPflf
    .private_segment_fixed_size: 0
    .sgpr_count:     18
    .sgpr_spill_count: 0
    .symbol:         _Z9fwht_cudaILi128EEvPKfPflf.kd
    .uniform_work_group_size: 1
    .uses_dynamic_stack: false
    .vgpr_count:     15
    .vgpr_spill_count: 0
    .wavefront_size: 32
    .workgroup_processor_mode: 1
  - .args:
      - .address_space:  global
        .offset:         0
        .size:           8
        .value_kind:     global_buffer
      - .address_space:  global
        .offset:         8
        .size:           8
        .value_kind:     global_buffer
      - .offset:         16
        .size:           8
        .value_kind:     by_value
      - .offset:         24
        .size:           4
        .value_kind:     by_value
      - .offset:         32
        .size:           4
        .value_kind:     hidden_block_count_x
      - .offset:         36
        .size:           4
        .value_kind:     hidden_block_count_y
      - .offset:         40
        .size:           4
        .value_kind:     hidden_block_count_z
      - .offset:         44
        .size:           2
        .value_kind:     hidden_group_size_x
      - .offset:         46
        .size:           2
        .value_kind:     hidden_group_size_y
      - .offset:         48
        .size:           2
        .value_kind:     hidden_group_size_z
      - .offset:         50
        .size:           2
        .value_kind:     hidden_remainder_x
      - .offset:         52
        .size:           2
        .value_kind:     hidden_remainder_y
      - .offset:         54
        .size:           2
        .value_kind:     hidden_remainder_z
      - .offset:         72
        .size:           8
        .value_kind:     hidden_global_offset_x
      - .offset:         80
        .size:           8
        .value_kind:     hidden_global_offset_y
      - .offset:         88
        .size:           8
        .value_kind:     hidden_global_offset_z
      - .offset:         96
        .size:           2
        .value_kind:     hidden_grid_dims
    .group_segment_fixed_size: 0
    .kernarg_segment_align: 8
    .kernarg_segment_size: 288
    .language:       OpenCL C
    .language_version:
      - 2
      - 0
    .max_flat_workgroup_size: 128
    .name:           _Z9fwht_cudaILi256EEvPKfPflf
    .private_segment_fixed_size: 0
    .sgpr_count:     18
    .sgpr_spill_count: 0
    .symbol:         _Z9fwht_cudaILi256EEvPKfPflf.kd
    .uniform_work_group_size: 1
    .uses_dynamic_stack: false
    .vgpr_count:     29
    .vgpr_spill_count: 0
    .wavefront_size: 32
    .workgroup_processor_mode: 1
  - .args:
      - .address_space:  global
        .offset:         0
        .size:           8
        .value_kind:     global_buffer
      - .address_space:  global
        .offset:         8
        .size:           8
        .value_kind:     global_buffer
      - .offset:         16
        .size:           8
        .value_kind:     by_value
      - .offset:         24
        .size:           4
        .value_kind:     by_value
      - .offset:         32
        .size:           4
        .value_kind:     hidden_block_count_x
      - .offset:         36
        .size:           4
        .value_kind:     hidden_block_count_y
      - .offset:         40
        .size:           4
        .value_kind:     hidden_block_count_z
      - .offset:         44
        .size:           2
        .value_kind:     hidden_group_size_x
      - .offset:         46
        .size:           2
        .value_kind:     hidden_group_size_y
      - .offset:         48
        .size:           2
        .value_kind:     hidden_group_size_z
      - .offset:         50
        .size:           2
        .value_kind:     hidden_remainder_x
      - .offset:         52
        .size:           2
        .value_kind:     hidden_remainder_y
      - .offset:         54
        .size:           2
        .value_kind:     hidden_remainder_z
      - .offset:         72
        .size:           8
        .value_kind:     hidden_global_offset_x
      - .offset:         80
        .size:           8
        .value_kind:     hidden_global_offset_y
      - .offset:         88
        .size:           8
        .value_kind:     hidden_global_offset_z
      - .offset:         96
        .size:           2
        .value_kind:     hidden_grid_dims
    .group_segment_fixed_size: 0
    .kernarg_segment_align: 8
    .kernarg_segment_size: 288
    .language:       OpenCL C
    .language_version:
      - 2
      - 0
    .max_flat_workgroup_size: 128
    .name:           _Z9fwht_cudaILi512EEvPKfPflf
    .private_segment_fixed_size: 0
    .sgpr_count:     18
    .sgpr_spill_count: 0
    .symbol:         _Z9fwht_cudaILi512EEvPKfPflf.kd
    .uniform_work_group_size: 1
    .uses_dynamic_stack: false
    .vgpr_count:     42
    .vgpr_spill_count: 0
    .wavefront_size: 32
    .workgroup_processor_mode: 1
amdhsa.target:   amdgcn-amd-amdhsa--gfx1100
amdhsa.version:
  - 1
  - 2
...

	.end_amdgpu_metadata
